;; amdgpu-corpus repo=zjin-lcf/HeCBench kind=compiled arch=gfx1030 opt=O3
	.amdgcn_target "amdgcn-amd-amdhsa--gfx1030"
	.amdhsa_code_object_version 6
	.text
	.protected	_Z19silu_forward_kernelPKfPfm ; -- Begin function _Z19silu_forward_kernelPKfPfm
	.globl	_Z19silu_forward_kernelPKfPfm
	.p2align	8
	.type	_Z19silu_forward_kernelPKfPfm,@function
_Z19silu_forward_kernelPKfPfm:          ; @_Z19silu_forward_kernelPKfPfm
; %bb.0:
	s_clause 0x1
	s_load_dword s2, s[4:5], 0x24
	s_load_dwordx2 s[0:1], s[4:5], 0x10
	v_mov_b32_e32 v1, 0
	s_waitcnt lgkmcnt(0)
	s_and_b32 s2, s2, 0xffff
	v_mad_u64_u32 v[0:1], null, s2, s6, v[0:1]
	v_cmp_gt_u64_e32 vcc_lo, s[0:1], v[0:1]
	s_and_saveexec_b32 s0, vcc_lo
	s_cbranch_execz .LBB0_2
; %bb.1:
	s_load_dwordx4 s[0:3], s[4:5], 0x0
	v_lshlrev_b64 v[0:1], 2, v[0:1]
	s_waitcnt lgkmcnt(0)
	v_add_co_u32 v2, vcc_lo, s0, v0
	v_add_co_ci_u32_e64 v3, null, s1, v1, vcc_lo
	global_load_dword v2, v[2:3], off
	s_waitcnt vmcnt(0)
	v_mul_f32_e32 v3, 0xbfb8aa3b, v2
	v_cmp_nlt_f32_e32 vcc_lo, 0x42ce8ed0, v2
	v_fma_f32 v4, 0xbfb8aa3b, v2, -v3
	v_rndne_f32_e32 v5, v3
	v_fmamk_f32 v4, v2, 0xb2a5705f, v4
	v_sub_f32_e32 v3, v3, v5
	v_add_f32_e32 v3, v3, v4
	v_cvt_i32_f32_e32 v4, v5
	v_exp_f32_e32 v3, v3
	v_ldexp_f32 v3, v3, v4
	v_cndmask_b32_e32 v3, 0, v3, vcc_lo
	v_cmp_ngt_f32_e32 vcc_lo, 0xc2b17218, v2
	v_cndmask_b32_e32 v3, 0x7f800000, v3, vcc_lo
	v_add_f32_e32 v3, 1.0, v3
	v_div_scale_f32 v4, null, v3, v3, v2
	v_div_scale_f32 v7, vcc_lo, v2, v3, v2
	v_rcp_f32_e32 v5, v4
	v_fma_f32 v6, -v4, v5, 1.0
	v_fmac_f32_e32 v5, v6, v5
	v_mul_f32_e32 v6, v7, v5
	v_fma_f32 v8, -v4, v6, v7
	v_fmac_f32_e32 v6, v8, v5
	v_fma_f32 v4, -v4, v6, v7
	v_div_fmas_f32 v4, v4, v5, v6
	v_add_co_u32 v0, vcc_lo, s2, v0
	v_add_co_ci_u32_e64 v1, null, s3, v1, vcc_lo
	v_div_fixup_f32 v2, v4, v3, v2
	global_store_dword v[0:1], v2, off
.LBB0_2:
	s_endpgm
	.section	.rodata,"a",@progbits
	.p2align	6, 0x0
	.amdhsa_kernel _Z19silu_forward_kernelPKfPfm
		.amdhsa_group_segment_fixed_size 0
		.amdhsa_private_segment_fixed_size 0
		.amdhsa_kernarg_size 280
		.amdhsa_user_sgpr_count 6
		.amdhsa_user_sgpr_private_segment_buffer 1
		.amdhsa_user_sgpr_dispatch_ptr 0
		.amdhsa_user_sgpr_queue_ptr 0
		.amdhsa_user_sgpr_kernarg_segment_ptr 1
		.amdhsa_user_sgpr_dispatch_id 0
		.amdhsa_user_sgpr_flat_scratch_init 0
		.amdhsa_user_sgpr_private_segment_size 0
		.amdhsa_wavefront_size32 1
		.amdhsa_uses_dynamic_stack 0
		.amdhsa_system_sgpr_private_segment_wavefront_offset 0
		.amdhsa_system_sgpr_workgroup_id_x 1
		.amdhsa_system_sgpr_workgroup_id_y 0
		.amdhsa_system_sgpr_workgroup_id_z 0
		.amdhsa_system_sgpr_workgroup_info 0
		.amdhsa_system_vgpr_workitem_id 0
		.amdhsa_next_free_vgpr 9
		.amdhsa_next_free_sgpr 7
		.amdhsa_reserve_vcc 1
		.amdhsa_reserve_flat_scratch 0
		.amdhsa_float_round_mode_32 0
		.amdhsa_float_round_mode_16_64 0
		.amdhsa_float_denorm_mode_32 3
		.amdhsa_float_denorm_mode_16_64 3
		.amdhsa_dx10_clamp 1
		.amdhsa_ieee_mode 1
		.amdhsa_fp16_overflow 0
		.amdhsa_workgroup_processor_mode 1
		.amdhsa_memory_ordered 1
		.amdhsa_forward_progress 1
		.amdhsa_shared_vgpr_count 0
		.amdhsa_exception_fp_ieee_invalid_op 0
		.amdhsa_exception_fp_denorm_src 0
		.amdhsa_exception_fp_ieee_div_zero 0
		.amdhsa_exception_fp_ieee_overflow 0
		.amdhsa_exception_fp_ieee_underflow 0
		.amdhsa_exception_fp_ieee_inexact 0
		.amdhsa_exception_int_div_zero 0
	.end_amdhsa_kernel
	.text
.Lfunc_end0:
	.size	_Z19silu_forward_kernelPKfPfm, .Lfunc_end0-_Z19silu_forward_kernelPKfPfm
                                        ; -- End function
	.set _Z19silu_forward_kernelPKfPfm.num_vgpr, 9
	.set _Z19silu_forward_kernelPKfPfm.num_agpr, 0
	.set _Z19silu_forward_kernelPKfPfm.numbered_sgpr, 7
	.set _Z19silu_forward_kernelPKfPfm.num_named_barrier, 0
	.set _Z19silu_forward_kernelPKfPfm.private_seg_size, 0
	.set _Z19silu_forward_kernelPKfPfm.uses_vcc, 1
	.set _Z19silu_forward_kernelPKfPfm.uses_flat_scratch, 0
	.set _Z19silu_forward_kernelPKfPfm.has_dyn_sized_stack, 0
	.set _Z19silu_forward_kernelPKfPfm.has_recursion, 0
	.set _Z19silu_forward_kernelPKfPfm.has_indirect_call, 0
	.section	.AMDGPU.csdata,"",@progbits
; Kernel info:
; codeLenInByte = 292
; TotalNumSgprs: 9
; NumVgprs: 9
; ScratchSize: 0
; MemoryBound: 0
; FloatMode: 240
; IeeeMode: 1
; LDSByteSize: 0 bytes/workgroup (compile time only)
; SGPRBlocks: 0
; VGPRBlocks: 1
; NumSGPRsForWavesPerEU: 9
; NumVGPRsForWavesPerEU: 9
; Occupancy: 16
; WaveLimiterHint : 0
; COMPUTE_PGM_RSRC2:SCRATCH_EN: 0
; COMPUTE_PGM_RSRC2:USER_SGPR: 6
; COMPUTE_PGM_RSRC2:TRAP_HANDLER: 0
; COMPUTE_PGM_RSRC2:TGID_X_EN: 1
; COMPUTE_PGM_RSRC2:TGID_Y_EN: 0
; COMPUTE_PGM_RSRC2:TGID_Z_EN: 0
; COMPUTE_PGM_RSRC2:TIDIG_COMP_CNT: 0
	.text
	.protected	_Z20silu_forward_kernel2PKfPfm ; -- Begin function _Z20silu_forward_kernel2PKfPfm
	.globl	_Z20silu_forward_kernel2PKfPfm
	.p2align	8
	.type	_Z20silu_forward_kernel2PKfPfm,@function
_Z20silu_forward_kernel2PKfPfm:         ; @_Z20silu_forward_kernel2PKfPfm
; %bb.0:
	s_clause 0x2
	s_load_dword s0, s[4:5], 0x24
	s_load_dwordx2 s[12:13], s[4:5], 0x10
	s_load_dwordx4 s[8:11], s[4:5], 0x0
	v_mov_b32_e32 v1, 0
	s_mov_b32 s4, exec_lo
	s_waitcnt lgkmcnt(0)
	s_and_b32 s3, s0, 0xffff
	s_lshr_b64 s[0:1], s[12:13], 2
	v_mad_u64_u32 v[0:1], null, s3, s6, v[0:1]
	v_cmpx_gt_u64_e64 s[0:1], v[0:1]
	s_cbranch_execz .LBB1_2
; %bb.1:
	v_lshlrev_b64 v[6:7], 4, v[0:1]
	v_add_co_u32 v2, vcc_lo, s8, v6
	v_add_co_ci_u32_e64 v3, null, s9, v7, vcc_lo
	global_load_dwordx4 v[2:5], v[2:3], off
	s_waitcnt vmcnt(0)
	v_mul_f32_e32 v8, 0xbfb8aa3b, v2
	v_mul_f32_e32 v9, 0xbfb8aa3b, v3
	;; [unrolled: 1-line block ×4, first 2 shown]
	v_cmp_nlt_f32_e32 vcc_lo, 0x42ce8ed0, v2
	v_fma_f32 v12, 0xbfb8aa3b, v2, -v8
	v_rndne_f32_e32 v13, v8
	v_fma_f32 v14, 0xbfb8aa3b, v3, -v9
	v_rndne_f32_e32 v15, v9
	v_fma_f32 v16, 0xbfb8aa3b, v4, -v10
	v_fmac_f32_e32 v12, 0xb2a5705f, v2
	v_sub_f32_e32 v8, v8, v13
	v_rndne_f32_e32 v17, v10
	v_fmac_f32_e32 v14, 0xb2a5705f, v3
	v_sub_f32_e32 v9, v9, v15
	v_fma_f32 v18, 0xbfb8aa3b, v5, -v11
	v_add_f32_e32 v8, v8, v12
	v_rndne_f32_e32 v19, v11
	v_fmac_f32_e32 v16, 0xb2a5705f, v4
	v_sub_f32_e32 v10, v10, v17
	v_add_f32_e32 v9, v9, v14
	v_exp_f32_e32 v8, v8
	v_fmac_f32_e32 v18, 0xb2a5705f, v5
	v_sub_f32_e32 v11, v11, v19
	v_add_f32_e32 v10, v10, v16
	v_exp_f32_e32 v9, v9
	v_cvt_i32_f32_e32 v12, v13
	v_cvt_i32_f32_e32 v13, v15
	v_add_f32_e32 v11, v11, v18
	v_exp_f32_e32 v10, v10
	v_cvt_i32_f32_e32 v14, v17
	v_ldexp_f32 v8, v8, v12
	v_cvt_i32_f32_e32 v15, v19
	v_exp_f32_e32 v11, v11
	v_ldexp_f32 v9, v9, v13
	v_cndmask_b32_e32 v8, 0, v8, vcc_lo
	v_cmp_nlt_f32_e32 vcc_lo, 0x42ce8ed0, v3
	v_ldexp_f32 v10, v10, v14
	v_cndmask_b32_e32 v9, 0, v9, vcc_lo
	v_cmp_nlt_f32_e32 vcc_lo, 0x42ce8ed0, v4
	v_ldexp_f32 v11, v11, v15
	v_cndmask_b32_e32 v10, 0, v10, vcc_lo
	v_cmp_nlt_f32_e32 vcc_lo, 0x42ce8ed0, v5
	v_cndmask_b32_e32 v11, 0, v11, vcc_lo
	v_cmp_ngt_f32_e32 vcc_lo, 0xc2b17218, v2
	v_cndmask_b32_e32 v8, 0x7f800000, v8, vcc_lo
	v_cmp_ngt_f32_e32 vcc_lo, 0xc2b17218, v3
	v_add_f32_e32 v8, 1.0, v8
	v_cndmask_b32_e32 v9, 0x7f800000, v9, vcc_lo
	v_cmp_ngt_f32_e32 vcc_lo, 0xc2b17218, v4
	v_div_scale_f32 v12, null, v8, v8, v2
	v_cndmask_b32_e32 v10, 0x7f800000, v10, vcc_lo
	v_cmp_ngt_f32_e32 vcc_lo, 0xc2b17218, v5
	v_add_f32_e32 v9, 1.0, v9
	v_rcp_f32_e32 v16, v12
	v_add_f32_e32 v10, 1.0, v10
	v_cndmask_b32_e32 v11, 0x7f800000, v11, vcc_lo
	v_div_scale_f32 v13, null, v9, v9, v3
	v_div_scale_f32 v20, vcc_lo, v2, v8, v2
	v_add_f32_e32 v11, 1.0, v11
	v_div_scale_f32 v14, null, v10, v10, v4
	v_rcp_f32_e32 v17, v13
	v_fma_f32 v23, -v12, v16, 1.0
	v_div_scale_f32 v15, null, v11, v11, v5
	v_rcp_f32_e32 v18, v14
	v_div_scale_f32 v21, s0, v3, v9, v3
	v_rcp_f32_e32 v19, v15
	v_fmac_f32_e32 v16, v23, v16
	v_div_scale_f32 v22, s1, v4, v10, v4
	v_fma_f32 v24, -v13, v17, 1.0
	v_div_scale_f32 v27, s2, v5, v11, v5
	v_fma_f32 v25, -v14, v18, 1.0
	v_mul_f32_e32 v23, v20, v16
	v_fmac_f32_e32 v17, v24, v17
	v_fma_f32 v26, -v15, v19, 1.0
	v_fmac_f32_e32 v18, v25, v18
	v_fma_f32 v28, -v12, v23, v20
	v_mul_f32_e32 v24, v21, v17
	v_fmac_f32_e32 v19, v26, v19
	v_mul_f32_e32 v25, v22, v18
	v_fmac_f32_e32 v23, v28, v16
	v_fma_f32 v29, -v13, v24, v21
	v_mul_f32_e32 v26, v27, v19
	v_fma_f32 v30, -v14, v25, v22
	v_fma_f32 v12, -v12, v23, v20
	v_fmac_f32_e32 v24, v29, v17
	v_fma_f32 v31, -v15, v26, v27
	v_fmac_f32_e32 v25, v30, v18
	v_div_fmas_f32 v12, v12, v16, v23
	v_fma_f32 v13, -v13, v24, v21
	v_fmac_f32_e32 v26, v31, v19
	s_mov_b32 vcc_lo, s0
	v_fma_f32 v14, -v14, v25, v22
	v_div_fixup_f32 v2, v12, v8, v2
	v_div_fmas_f32 v13, v13, v17, v24
	v_fma_f32 v15, -v15, v26, v27
	s_mov_b32 vcc_lo, s1
	v_div_fmas_f32 v14, v14, v18, v25
	s_mov_b32 vcc_lo, s2
	v_div_fixup_f32 v3, v13, v9, v3
	v_div_fmas_f32 v15, v15, v19, v26
	v_add_co_u32 v6, vcc_lo, s10, v6
	v_div_fixup_f32 v4, v14, v10, v4
	v_add_co_ci_u32_e64 v7, null, s11, v7, vcc_lo
	v_div_fixup_f32 v5, v15, v11, v5
	global_store_dwordx4 v[6:7], v[2:5], off
.LBB1_2:
	s_or_b32 exec_lo, exec_lo, s4
	s_and_b32 s0, s12, -4
	v_add_co_u32 v0, vcc_lo, v0, s0
	v_add_co_ci_u32_e64 v1, null, s13, v1, vcc_lo
	s_mov_b32 s0, exec_lo
	v_cmpx_gt_u64_e64 s[12:13], v[0:1]
	s_cbranch_execz .LBB1_5
; %bb.3:
	v_lshlrev_b64 v[2:3], 2, v[0:1]
	s_lshl_b32 s1, s3, 2
	s_mov_b32 s2, 0
.LBB1_4:                                ; =>This Inner Loop Header: Depth=1
	v_add_co_u32 v4, vcc_lo, s8, v2
	v_add_co_ci_u32_e64 v5, null, s9, v3, vcc_lo
	global_load_dword v6, v[4:5], off
	s_waitcnt vmcnt(0)
	v_mul_f32_e32 v4, 0xbfb8aa3b, v6
	v_cmp_nlt_f32_e32 vcc_lo, 0x42ce8ed0, v6
	v_fma_f32 v5, 0xbfb8aa3b, v6, -v4
	v_rndne_f32_e32 v7, v4
	v_fmac_f32_e32 v5, 0xb2a5705f, v6
	v_sub_f32_e32 v4, v4, v7
	v_add_f32_e32 v4, v4, v5
	v_cvt_i32_f32_e32 v5, v7
	v_exp_f32_e32 v4, v4
	v_ldexp_f32 v4, v4, v5
	v_cndmask_b32_e32 v4, 0, v4, vcc_lo
	v_cmp_ngt_f32_e32 vcc_lo, 0xc2b17218, v6
	v_cndmask_b32_e32 v4, 0x7f800000, v4, vcc_lo
	v_add_f32_e32 v7, 1.0, v4
	v_div_scale_f32 v8, null, v7, v7, v6
	v_div_scale_f32 v10, vcc_lo, v6, v7, v6
	v_rcp_f32_e32 v9, v8
	v_fma_f32 v4, -v8, v9, 1.0
	v_fmac_f32_e32 v9, v4, v9
	v_add_co_u32 v4, s0, s10, v2
	v_mul_f32_e32 v11, v10, v9
	v_fma_f32 v5, -v8, v11, v10
	v_fmac_f32_e32 v11, v5, v9
	v_add_co_ci_u32_e64 v5, null, s11, v3, s0
	v_add_co_u32 v0, s0, v0, s3
	v_fma_f32 v8, -v8, v11, v10
	v_add_co_ci_u32_e64 v1, null, 0, v1, s0
	v_add_co_u32 v2, s0, v2, s1
	v_div_fmas_f32 v8, v8, v9, v11
	v_cmp_le_u64_e32 vcc_lo, s[12:13], v[0:1]
	v_add_co_ci_u32_e64 v3, null, 0, v3, s0
	v_div_fixup_f32 v6, v8, v7, v6
	s_or_b32 s2, vcc_lo, s2
	global_store_dword v[4:5], v6, off
	s_andn2_b32 exec_lo, exec_lo, s2
	s_cbranch_execnz .LBB1_4
.LBB1_5:
	s_endpgm
	.section	.rodata,"a",@progbits
	.p2align	6, 0x0
	.amdhsa_kernel _Z20silu_forward_kernel2PKfPfm
		.amdhsa_group_segment_fixed_size 0
		.amdhsa_private_segment_fixed_size 0
		.amdhsa_kernarg_size 280
		.amdhsa_user_sgpr_count 6
		.amdhsa_user_sgpr_private_segment_buffer 1
		.amdhsa_user_sgpr_dispatch_ptr 0
		.amdhsa_user_sgpr_queue_ptr 0
		.amdhsa_user_sgpr_kernarg_segment_ptr 1
		.amdhsa_user_sgpr_dispatch_id 0
		.amdhsa_user_sgpr_flat_scratch_init 0
		.amdhsa_user_sgpr_private_segment_size 0
		.amdhsa_wavefront_size32 1
		.amdhsa_uses_dynamic_stack 0
		.amdhsa_system_sgpr_private_segment_wavefront_offset 0
		.amdhsa_system_sgpr_workgroup_id_x 1
		.amdhsa_system_sgpr_workgroup_id_y 0
		.amdhsa_system_sgpr_workgroup_id_z 0
		.amdhsa_system_sgpr_workgroup_info 0
		.amdhsa_system_vgpr_workitem_id 0
		.amdhsa_next_free_vgpr 32
		.amdhsa_next_free_sgpr 14
		.amdhsa_reserve_vcc 1
		.amdhsa_reserve_flat_scratch 0
		.amdhsa_float_round_mode_32 0
		.amdhsa_float_round_mode_16_64 0
		.amdhsa_float_denorm_mode_32 3
		.amdhsa_float_denorm_mode_16_64 3
		.amdhsa_dx10_clamp 1
		.amdhsa_ieee_mode 1
		.amdhsa_fp16_overflow 0
		.amdhsa_workgroup_processor_mode 1
		.amdhsa_memory_ordered 1
		.amdhsa_forward_progress 1
		.amdhsa_shared_vgpr_count 0
		.amdhsa_exception_fp_ieee_invalid_op 0
		.amdhsa_exception_fp_denorm_src 0
		.amdhsa_exception_fp_ieee_div_zero 0
		.amdhsa_exception_fp_ieee_overflow 0
		.amdhsa_exception_fp_ieee_underflow 0
		.amdhsa_exception_fp_ieee_inexact 0
		.amdhsa_exception_int_div_zero 0
	.end_amdhsa_kernel
	.text
.Lfunc_end1:
	.size	_Z20silu_forward_kernel2PKfPfm, .Lfunc_end1-_Z20silu_forward_kernel2PKfPfm
                                        ; -- End function
	.set _Z20silu_forward_kernel2PKfPfm.num_vgpr, 32
	.set _Z20silu_forward_kernel2PKfPfm.num_agpr, 0
	.set _Z20silu_forward_kernel2PKfPfm.numbered_sgpr, 14
	.set _Z20silu_forward_kernel2PKfPfm.num_named_barrier, 0
	.set _Z20silu_forward_kernel2PKfPfm.private_seg_size, 0
	.set _Z20silu_forward_kernel2PKfPfm.uses_vcc, 1
	.set _Z20silu_forward_kernel2PKfPfm.uses_flat_scratch, 0
	.set _Z20silu_forward_kernel2PKfPfm.has_dyn_sized_stack, 0
	.set _Z20silu_forward_kernel2PKfPfm.has_recursion, 0
	.set _Z20silu_forward_kernel2PKfPfm.has_indirect_call, 0
	.section	.AMDGPU.csdata,"",@progbits
; Kernel info:
; codeLenInByte = 1104
; TotalNumSgprs: 16
; NumVgprs: 32
; ScratchSize: 0
; MemoryBound: 0
; FloatMode: 240
; IeeeMode: 1
; LDSByteSize: 0 bytes/workgroup (compile time only)
; SGPRBlocks: 0
; VGPRBlocks: 3
; NumSGPRsForWavesPerEU: 16
; NumVGPRsForWavesPerEU: 32
; Occupancy: 16
; WaveLimiterHint : 0
; COMPUTE_PGM_RSRC2:SCRATCH_EN: 0
; COMPUTE_PGM_RSRC2:USER_SGPR: 6
; COMPUTE_PGM_RSRC2:TRAP_HANDLER: 0
; COMPUTE_PGM_RSRC2:TGID_X_EN: 1
; COMPUTE_PGM_RSRC2:TGID_Y_EN: 0
; COMPUTE_PGM_RSRC2:TGID_Z_EN: 0
; COMPUTE_PGM_RSRC2:TIDIG_COMP_CNT: 0
	.text
	.protected	_Z20silu_backward_kernelPKfS0_Pfm ; -- Begin function _Z20silu_backward_kernelPKfS0_Pfm
	.globl	_Z20silu_backward_kernelPKfS0_Pfm
	.p2align	8
	.type	_Z20silu_backward_kernelPKfS0_Pfm,@function
_Z20silu_backward_kernelPKfS0_Pfm:      ; @_Z20silu_backward_kernelPKfS0_Pfm
; %bb.0:
	s_clause 0x1
	s_load_dword s0, s[4:5], 0x2c
	s_load_dwordx8 s[8:15], s[4:5], 0x0
	v_mov_b32_e32 v1, 0
	s_waitcnt lgkmcnt(0)
	s_and_b32 s0, s0, 0xffff
	v_mad_u64_u32 v[0:1], null, s0, s6, v[0:1]
	s_mov_b32 s0, exec_lo
	v_cmpx_gt_u64_e64 s[14:15], v[0:1]
	s_cbranch_execz .LBB2_2
; %bb.1:
	v_lshlrev_b64 v[0:1], 2, v[0:1]
	v_add_co_u32 v2, vcc_lo, s10, v0
	v_add_co_ci_u32_e64 v3, null, s11, v1, vcc_lo
	global_load_dword v4, v[2:3], off
	v_add_co_u32 v2, vcc_lo, s8, v0
	v_add_co_ci_u32_e64 v3, null, s9, v1, vcc_lo
	global_load_dword v2, v[2:3], off
	s_waitcnt vmcnt(1)
	v_mul_f32_e32 v3, 0xbfb8aa3b, v4
	v_cmp_nlt_f32_e32 vcc_lo, 0x42ce8ed0, v4
	v_fma_f32 v5, 0xbfb8aa3b, v4, -v3
	v_rndne_f32_e32 v6, v3
	v_fmamk_f32 v5, v4, 0xb2a5705f, v5
	v_sub_f32_e32 v3, v3, v6
	v_add_f32_e32 v3, v3, v5
	v_cvt_i32_f32_e32 v5, v6
	v_exp_f32_e32 v3, v3
	v_ldexp_f32 v3, v3, v5
	v_cndmask_b32_e32 v3, 0, v3, vcc_lo
	v_cmp_ngt_f32_e32 vcc_lo, 0xc2b17218, v4
	v_cndmask_b32_e32 v3, 0x7f800000, v3, vcc_lo
	v_mul_f32_e32 v4, v4, v3
	v_add_f32_e32 v3, 1.0, v3
	v_div_scale_f32 v5, null, v3, v3, v4
	v_div_scale_f32 v8, vcc_lo, v4, v3, v4
	v_rcp_f32_e32 v6, v5
	v_fma_f32 v7, -v5, v6, 1.0
	v_fmac_f32_e32 v6, v7, v6
	v_mul_f32_e32 v7, v8, v6
	v_fma_f32 v9, -v5, v7, v8
	v_fmac_f32_e32 v7, v9, v6
	v_fma_f32 v5, -v5, v7, v8
	v_div_fmas_f32 v5, v5, v6, v7
	v_div_fixup_f32 v4, v5, v3, v4
	v_add_f32_e32 v4, 1.0, v4
	v_div_scale_f32 v5, null, v3, v3, v4
	v_div_scale_f32 v8, vcc_lo, v4, v3, v4
	v_rcp_f32_e32 v6, v5
	v_fma_f32 v7, -v5, v6, 1.0
	v_fmac_f32_e32 v6, v7, v6
	v_mul_f32_e32 v7, v8, v6
	v_fma_f32 v9, -v5, v7, v8
	v_fmac_f32_e32 v7, v9, v6
	v_fma_f32 v5, -v5, v7, v8
	v_div_fmas_f32 v5, v5, v6, v7
	v_add_co_u32 v0, vcc_lo, s12, v0
	v_add_co_ci_u32_e64 v1, null, s13, v1, vcc_lo
	v_div_fixup_f32 v3, v5, v3, v4
	s_waitcnt vmcnt(0)
	v_mul_f32_e32 v2, v2, v3
	global_store_dword v[0:1], v2, off
.LBB2_2:
	s_endpgm
	.section	.rodata,"a",@progbits
	.p2align	6, 0x0
	.amdhsa_kernel _Z20silu_backward_kernelPKfS0_Pfm
		.amdhsa_group_segment_fixed_size 0
		.amdhsa_private_segment_fixed_size 0
		.amdhsa_kernarg_size 288
		.amdhsa_user_sgpr_count 6
		.amdhsa_user_sgpr_private_segment_buffer 1
		.amdhsa_user_sgpr_dispatch_ptr 0
		.amdhsa_user_sgpr_queue_ptr 0
		.amdhsa_user_sgpr_kernarg_segment_ptr 1
		.amdhsa_user_sgpr_dispatch_id 0
		.amdhsa_user_sgpr_flat_scratch_init 0
		.amdhsa_user_sgpr_private_segment_size 0
		.amdhsa_wavefront_size32 1
		.amdhsa_uses_dynamic_stack 0
		.amdhsa_system_sgpr_private_segment_wavefront_offset 0
		.amdhsa_system_sgpr_workgroup_id_x 1
		.amdhsa_system_sgpr_workgroup_id_y 0
		.amdhsa_system_sgpr_workgroup_id_z 0
		.amdhsa_system_sgpr_workgroup_info 0
		.amdhsa_system_vgpr_workitem_id 0
		.amdhsa_next_free_vgpr 10
		.amdhsa_next_free_sgpr 16
		.amdhsa_reserve_vcc 1
		.amdhsa_reserve_flat_scratch 0
		.amdhsa_float_round_mode_32 0
		.amdhsa_float_round_mode_16_64 0
		.amdhsa_float_denorm_mode_32 3
		.amdhsa_float_denorm_mode_16_64 3
		.amdhsa_dx10_clamp 1
		.amdhsa_ieee_mode 1
		.amdhsa_fp16_overflow 0
		.amdhsa_workgroup_processor_mode 1
		.amdhsa_memory_ordered 1
		.amdhsa_forward_progress 1
		.amdhsa_shared_vgpr_count 0
		.amdhsa_exception_fp_ieee_invalid_op 0
		.amdhsa_exception_fp_denorm_src 0
		.amdhsa_exception_fp_ieee_div_zero 0
		.amdhsa_exception_fp_ieee_overflow 0
		.amdhsa_exception_fp_ieee_underflow 0
		.amdhsa_exception_fp_ieee_inexact 0
		.amdhsa_exception_int_div_zero 0
	.end_amdhsa_kernel
	.text
.Lfunc_end2:
	.size	_Z20silu_backward_kernelPKfS0_Pfm, .Lfunc_end2-_Z20silu_backward_kernelPKfS0_Pfm
                                        ; -- End function
	.set _Z20silu_backward_kernelPKfS0_Pfm.num_vgpr, 10
	.set _Z20silu_backward_kernelPKfS0_Pfm.num_agpr, 0
	.set _Z20silu_backward_kernelPKfS0_Pfm.numbered_sgpr, 16
	.set _Z20silu_backward_kernelPKfS0_Pfm.num_named_barrier, 0
	.set _Z20silu_backward_kernelPKfS0_Pfm.private_seg_size, 0
	.set _Z20silu_backward_kernelPKfS0_Pfm.uses_vcc, 1
	.set _Z20silu_backward_kernelPKfS0_Pfm.uses_flat_scratch, 0
	.set _Z20silu_backward_kernelPKfS0_Pfm.has_dyn_sized_stack, 0
	.set _Z20silu_backward_kernelPKfS0_Pfm.has_recursion, 0
	.set _Z20silu_backward_kernelPKfS0_Pfm.has_indirect_call, 0
	.section	.AMDGPU.csdata,"",@progbits
; Kernel info:
; codeLenInByte = 396
; TotalNumSgprs: 18
; NumVgprs: 10
; ScratchSize: 0
; MemoryBound: 0
; FloatMode: 240
; IeeeMode: 1
; LDSByteSize: 0 bytes/workgroup (compile time only)
; SGPRBlocks: 0
; VGPRBlocks: 1
; NumSGPRsForWavesPerEU: 18
; NumVGPRsForWavesPerEU: 10
; Occupancy: 16
; WaveLimiterHint : 0
; COMPUTE_PGM_RSRC2:SCRATCH_EN: 0
; COMPUTE_PGM_RSRC2:USER_SGPR: 6
; COMPUTE_PGM_RSRC2:TRAP_HANDLER: 0
; COMPUTE_PGM_RSRC2:TGID_X_EN: 1
; COMPUTE_PGM_RSRC2:TGID_Y_EN: 0
; COMPUTE_PGM_RSRC2:TGID_Z_EN: 0
; COMPUTE_PGM_RSRC2:TIDIG_COMP_CNT: 0
	.text
	.protected	_Z21silu_backward_kernel2PKfS0_Pfm ; -- Begin function _Z21silu_backward_kernel2PKfS0_Pfm
	.globl	_Z21silu_backward_kernel2PKfS0_Pfm
	.p2align	8
	.type	_Z21silu_backward_kernel2PKfS0_Pfm,@function
_Z21silu_backward_kernel2PKfS0_Pfm:     ; @_Z21silu_backward_kernel2PKfS0_Pfm
; %bb.0:
	s_clause 0x1
	s_load_dword s0, s[4:5], 0x2c
	s_load_dwordx8 s[8:15], s[4:5], 0x0
	v_mov_b32_e32 v1, 0
	s_waitcnt lgkmcnt(0)
	s_and_b32 s0, s0, 0xffff
	v_mad_u64_u32 v[0:1], null, s0, s6, v[0:1]
	s_mov_b32 s0, exec_lo
	v_cmpx_gt_u64_e64 s[14:15], v[0:1]
	s_cbranch_execz .LBB3_2
; %bb.1:
	v_lshlrev_b64 v[0:1], 2, v[0:1]
	v_add_co_u32 v2, vcc_lo, s10, v0
	v_add_co_ci_u32_e64 v3, null, s11, v1, vcc_lo
	global_load_dword v4, v[2:3], off
	v_add_co_u32 v2, vcc_lo, s8, v0
	v_add_co_ci_u32_e64 v3, null, s9, v1, vcc_lo
	global_load_dword v2, v[2:3], off
	s_waitcnt vmcnt(1)
	v_mul_f32_e32 v3, 0xbfb8aa3b, v4
	v_cmp_nlt_f32_e32 vcc_lo, 0x42ce8ed0, v4
	v_fma_f32 v5, 0xbfb8aa3b, v4, -v3
	v_rndne_f32_e32 v6, v3
	v_fmamk_f32 v5, v4, 0xb2a5705f, v5
	v_sub_f32_e32 v3, v3, v6
	v_add_f32_e32 v3, v3, v5
	v_cvt_i32_f32_e32 v5, v6
	v_exp_f32_e32 v3, v3
	v_ldexp_f32 v3, v3, v5
	v_cndmask_b32_e32 v3, 0, v3, vcc_lo
	v_cmp_ngt_f32_e32 vcc_lo, 0xc2b17218, v4
	v_cndmask_b32_e32 v3, 0x7f800000, v3, vcc_lo
	v_add_f32_e32 v3, 1.0, v3
	v_div_scale_f32 v5, null, v3, v3, 1.0
	v_div_scale_f32 v8, vcc_lo, 1.0, v3, 1.0
	v_rcp_f32_e32 v6, v5
	v_fma_f32 v7, -v5, v6, 1.0
	v_fmac_f32_e32 v6, v7, v6
	v_mul_f32_e32 v7, v8, v6
	v_fma_f32 v9, -v5, v7, v8
	v_fmac_f32_e32 v7, v9, v6
	v_fma_f32 v5, -v5, v7, v8
	v_div_fmas_f32 v5, v5, v6, v7
	v_add_co_u32 v0, vcc_lo, s12, v0
	v_add_co_ci_u32_e64 v1, null, s13, v1, vcc_lo
	v_div_fixup_f32 v3, v5, v3, 1.0
	v_sub_f32_e32 v5, 1.0, v3
	v_fma_f32 v4, v4, v5, 1.0
	v_mul_f32_e32 v3, v3, v4
	s_waitcnt vmcnt(0)
	v_mul_f32_e32 v2, v2, v3
	global_store_dword v[0:1], v2, off
.LBB3_2:
	s_endpgm
	.section	.rodata,"a",@progbits
	.p2align	6, 0x0
	.amdhsa_kernel _Z21silu_backward_kernel2PKfS0_Pfm
		.amdhsa_group_segment_fixed_size 0
		.amdhsa_private_segment_fixed_size 0
		.amdhsa_kernarg_size 288
		.amdhsa_user_sgpr_count 6
		.amdhsa_user_sgpr_private_segment_buffer 1
		.amdhsa_user_sgpr_dispatch_ptr 0
		.amdhsa_user_sgpr_queue_ptr 0
		.amdhsa_user_sgpr_kernarg_segment_ptr 1
		.amdhsa_user_sgpr_dispatch_id 0
		.amdhsa_user_sgpr_flat_scratch_init 0
		.amdhsa_user_sgpr_private_segment_size 0
		.amdhsa_wavefront_size32 1
		.amdhsa_uses_dynamic_stack 0
		.amdhsa_system_sgpr_private_segment_wavefront_offset 0
		.amdhsa_system_sgpr_workgroup_id_x 1
		.amdhsa_system_sgpr_workgroup_id_y 0
		.amdhsa_system_sgpr_workgroup_id_z 0
		.amdhsa_system_sgpr_workgroup_info 0
		.amdhsa_system_vgpr_workitem_id 0
		.amdhsa_next_free_vgpr 10
		.amdhsa_next_free_sgpr 16
		.amdhsa_reserve_vcc 1
		.amdhsa_reserve_flat_scratch 0
		.amdhsa_float_round_mode_32 0
		.amdhsa_float_round_mode_16_64 0
		.amdhsa_float_denorm_mode_32 3
		.amdhsa_float_denorm_mode_16_64 3
		.amdhsa_dx10_clamp 1
		.amdhsa_ieee_mode 1
		.amdhsa_fp16_overflow 0
		.amdhsa_workgroup_processor_mode 1
		.amdhsa_memory_ordered 1
		.amdhsa_forward_progress 1
		.amdhsa_shared_vgpr_count 0
		.amdhsa_exception_fp_ieee_invalid_op 0
		.amdhsa_exception_fp_denorm_src 0
		.amdhsa_exception_fp_ieee_div_zero 0
		.amdhsa_exception_fp_ieee_overflow 0
		.amdhsa_exception_fp_ieee_underflow 0
		.amdhsa_exception_fp_ieee_inexact 0
		.amdhsa_exception_int_div_zero 0
	.end_amdhsa_kernel
	.text
.Lfunc_end3:
	.size	_Z21silu_backward_kernel2PKfS0_Pfm, .Lfunc_end3-_Z21silu_backward_kernel2PKfS0_Pfm
                                        ; -- End function
	.set _Z21silu_backward_kernel2PKfS0_Pfm.num_vgpr, 10
	.set _Z21silu_backward_kernel2PKfS0_Pfm.num_agpr, 0
	.set _Z21silu_backward_kernel2PKfS0_Pfm.numbered_sgpr, 16
	.set _Z21silu_backward_kernel2PKfS0_Pfm.num_named_barrier, 0
	.set _Z21silu_backward_kernel2PKfS0_Pfm.private_seg_size, 0
	.set _Z21silu_backward_kernel2PKfS0_Pfm.uses_vcc, 1
	.set _Z21silu_backward_kernel2PKfS0_Pfm.uses_flat_scratch, 0
	.set _Z21silu_backward_kernel2PKfS0_Pfm.has_dyn_sized_stack, 0
	.set _Z21silu_backward_kernel2PKfS0_Pfm.has_recursion, 0
	.set _Z21silu_backward_kernel2PKfS0_Pfm.has_indirect_call, 0
	.section	.AMDGPU.csdata,"",@progbits
; Kernel info:
; codeLenInByte = 332
; TotalNumSgprs: 18
; NumVgprs: 10
; ScratchSize: 0
; MemoryBound: 0
; FloatMode: 240
; IeeeMode: 1
; LDSByteSize: 0 bytes/workgroup (compile time only)
; SGPRBlocks: 0
; VGPRBlocks: 1
; NumSGPRsForWavesPerEU: 18
; NumVGPRsForWavesPerEU: 10
; Occupancy: 16
; WaveLimiterHint : 0
; COMPUTE_PGM_RSRC2:SCRATCH_EN: 0
; COMPUTE_PGM_RSRC2:USER_SGPR: 6
; COMPUTE_PGM_RSRC2:TRAP_HANDLER: 0
; COMPUTE_PGM_RSRC2:TGID_X_EN: 1
; COMPUTE_PGM_RSRC2:TGID_Y_EN: 0
; COMPUTE_PGM_RSRC2:TGID_Z_EN: 0
; COMPUTE_PGM_RSRC2:TIDIG_COMP_CNT: 0
	.text
	.protected	_Z21silu_backward_kernel3PKfS0_Pfm ; -- Begin function _Z21silu_backward_kernel3PKfS0_Pfm
	.globl	_Z21silu_backward_kernel3PKfS0_Pfm
	.p2align	8
	.type	_Z21silu_backward_kernel3PKfS0_Pfm,@function
_Z21silu_backward_kernel3PKfS0_Pfm:     ; @_Z21silu_backward_kernel3PKfS0_Pfm
; %bb.0:
	s_clause 0x1
	s_load_dword s0, s[4:5], 0x2c
	s_load_dwordx8 s[8:15], s[4:5], 0x0
	v_mov_b32_e32 v1, 0
	s_mov_b32 s4, exec_lo
	s_waitcnt lgkmcnt(0)
	s_and_b32 s3, s0, 0xffff
	s_lshr_b64 s[0:1], s[14:15], 2
	v_mad_u64_u32 v[0:1], null, s3, s6, v[0:1]
	v_cmpx_gt_u64_e64 s[0:1], v[0:1]
	s_cbranch_execz .LBB4_2
; %bb.1:
	v_lshlrev_b64 v[10:11], 4, v[0:1]
	v_add_co_u32 v2, vcc_lo, s10, v10
	v_add_co_ci_u32_e64 v3, null, s11, v11, vcc_lo
	v_add_co_u32 v6, vcc_lo, s8, v10
	v_add_co_ci_u32_e64 v7, null, s9, v11, vcc_lo
	global_load_dwordx4 v[2:5], v[2:3], off
	global_load_dwordx4 v[6:9], v[6:7], off
	s_waitcnt vmcnt(1)
	v_mul_f32_e32 v12, 0xbfb8aa3b, v2
	v_mul_f32_e32 v13, 0xbfb8aa3b, v3
	;; [unrolled: 1-line block ×4, first 2 shown]
	v_cmp_nlt_f32_e32 vcc_lo, 0x42ce8ed0, v2
	v_fma_f32 v16, 0xbfb8aa3b, v2, -v12
	v_rndne_f32_e32 v17, v12
	v_fma_f32 v18, 0xbfb8aa3b, v3, -v13
	v_rndne_f32_e32 v19, v13
	v_fma_f32 v20, 0xbfb8aa3b, v4, -v14
	v_fmac_f32_e32 v16, 0xb2a5705f, v2
	v_sub_f32_e32 v12, v12, v17
	v_rndne_f32_e32 v21, v14
	v_fmac_f32_e32 v18, 0xb2a5705f, v3
	v_sub_f32_e32 v13, v13, v19
	v_fma_f32 v22, 0xbfb8aa3b, v5, -v15
	v_add_f32_e32 v12, v12, v16
	v_rndne_f32_e32 v23, v15
	v_fmac_f32_e32 v20, 0xb2a5705f, v4
	v_sub_f32_e32 v14, v14, v21
	v_add_f32_e32 v13, v13, v18
	v_exp_f32_e32 v12, v12
	v_fmac_f32_e32 v22, 0xb2a5705f, v5
	v_sub_f32_e32 v15, v15, v23
	v_add_f32_e32 v14, v14, v20
	v_exp_f32_e32 v13, v13
	v_cvt_i32_f32_e32 v16, v17
	v_cvt_i32_f32_e32 v17, v19
	v_add_f32_e32 v15, v15, v22
	v_exp_f32_e32 v14, v14
	v_cvt_i32_f32_e32 v18, v21
	v_ldexp_f32 v12, v12, v16
	v_cvt_i32_f32_e32 v19, v23
	v_exp_f32_e32 v15, v15
	v_ldexp_f32 v13, v13, v17
	v_cndmask_b32_e32 v12, 0, v12, vcc_lo
	v_cmp_nlt_f32_e32 vcc_lo, 0x42ce8ed0, v3
	v_ldexp_f32 v14, v14, v18
	v_cndmask_b32_e32 v13, 0, v13, vcc_lo
	v_cmp_nlt_f32_e32 vcc_lo, 0x42ce8ed0, v4
	;; [unrolled: 3-line block ×3, first 2 shown]
	v_cndmask_b32_e32 v15, 0, v15, vcc_lo
	v_cmp_ngt_f32_e32 vcc_lo, 0xc2b17218, v2
	v_cndmask_b32_e32 v12, 0x7f800000, v12, vcc_lo
	v_cmp_ngt_f32_e32 vcc_lo, 0xc2b17218, v3
	v_add_f32_e32 v12, 1.0, v12
	v_cndmask_b32_e32 v13, 0x7f800000, v13, vcc_lo
	v_cmp_ngt_f32_e32 vcc_lo, 0xc2b17218, v4
	v_div_scale_f32 v16, null, v12, v12, 1.0
	v_cndmask_b32_e32 v14, 0x7f800000, v14, vcc_lo
	v_cmp_ngt_f32_e32 vcc_lo, 0xc2b17218, v5
	v_add_f32_e32 v13, 1.0, v13
	v_rcp_f32_e32 v20, v16
	v_add_f32_e32 v14, 1.0, v14
	v_cndmask_b32_e32 v15, 0x7f800000, v15, vcc_lo
	v_div_scale_f32 v17, null, v13, v13, 1.0
	v_div_scale_f32 v24, vcc_lo, 1.0, v12, 1.0
	v_add_f32_e32 v15, 1.0, v15
	v_div_scale_f32 v18, null, v14, v14, 1.0
	v_rcp_f32_e32 v21, v17
	v_fma_f32 v27, -v16, v20, 1.0
	v_div_scale_f32 v19, null, v15, v15, 1.0
	v_rcp_f32_e32 v22, v18
	v_div_scale_f32 v25, s0, 1.0, v13, 1.0
	v_rcp_f32_e32 v23, v19
	v_fmac_f32_e32 v20, v27, v20
	v_div_scale_f32 v26, s1, 1.0, v14, 1.0
	v_fma_f32 v28, -v17, v21, 1.0
	v_div_scale_f32 v31, s2, 1.0, v15, 1.0
	v_fma_f32 v29, -v18, v22, 1.0
	v_mul_f32_e32 v27, v24, v20
	v_fmac_f32_e32 v21, v28, v21
	v_fma_f32 v30, -v19, v23, 1.0
	v_fmac_f32_e32 v22, v29, v22
	v_fma_f32 v32, -v16, v27, v24
	v_mul_f32_e32 v28, v25, v21
	v_fmac_f32_e32 v23, v30, v23
	v_mul_f32_e32 v29, v26, v22
	v_fmac_f32_e32 v27, v32, v20
	v_fma_f32 v33, -v17, v28, v25
	v_mul_f32_e32 v30, v31, v23
	v_fma_f32 v34, -v18, v29, v26
	v_fma_f32 v16, -v16, v27, v24
	v_fmac_f32_e32 v28, v33, v21
	v_fma_f32 v35, -v19, v30, v31
	v_fmac_f32_e32 v29, v34, v22
	v_div_fmas_f32 v16, v16, v20, v27
	v_fma_f32 v17, -v17, v28, v25
	v_fmac_f32_e32 v30, v35, v23
	s_mov_b32 vcc_lo, s0
	v_fma_f32 v18, -v18, v29, v26
	v_div_fixup_f32 v12, v16, v12, 1.0
	v_div_fmas_f32 v17, v17, v21, v28
	v_fma_f32 v19, -v19, v30, v31
	s_mov_b32 vcc_lo, s1
	v_div_fmas_f32 v18, v18, v22, v29
	s_mov_b32 vcc_lo, s2
	v_div_fixup_f32 v13, v17, v13, 1.0
	v_div_fmas_f32 v19, v19, v23, v30
	v_sub_f32_e32 v16, 1.0, v12
	v_div_fixup_f32 v14, v18, v14, 1.0
	v_sub_f32_e32 v17, 1.0, v13
	v_div_fixup_f32 v15, v19, v15, 1.0
	v_fma_f32 v2, v2, v16, 1.0
	v_sub_f32_e32 v18, 1.0, v14
	v_fma_f32 v3, v3, v17, 1.0
	v_sub_f32_e32 v19, 1.0, v15
	v_mul_f32_e32 v2, v12, v2
	v_fma_f32 v4, v4, v18, 1.0
	v_mul_f32_e32 v3, v13, v3
	v_fma_f32 v5, v5, v19, 1.0
	s_waitcnt vmcnt(0)
	v_mul_f32_e32 v2, v6, v2
	v_mul_f32_e32 v4, v14, v4
	v_add_co_u32 v6, vcc_lo, s12, v10
	v_mul_f32_e32 v5, v15, v5
	v_mul_f32_e32 v3, v7, v3
	;; [unrolled: 1-line block ×3, first 2 shown]
	v_add_co_ci_u32_e64 v7, null, s13, v11, vcc_lo
	v_mul_f32_e32 v5, v9, v5
	global_store_dwordx4 v[6:7], v[2:5], off
.LBB4_2:
	s_or_b32 exec_lo, exec_lo, s4
	s_and_b32 s0, s14, -4
	v_add_co_u32 v0, vcc_lo, v0, s0
	v_add_co_ci_u32_e64 v1, null, s15, v1, vcc_lo
	s_mov_b32 s0, exec_lo
	v_cmpx_gt_u64_e64 s[14:15], v[0:1]
	s_cbranch_execz .LBB4_5
; %bb.3:
	v_lshlrev_b64 v[2:3], 2, v[0:1]
	s_lshl_b32 s1, s3, 2
	s_mov_b32 s2, 0
.LBB4_4:                                ; =>This Inner Loop Header: Depth=1
	v_add_co_u32 v4, vcc_lo, s10, v2
	v_add_co_ci_u32_e64 v5, null, s11, v3, vcc_lo
	global_load_dword v6, v[4:5], off
	v_add_co_u32 v4, vcc_lo, s8, v2
	v_add_co_ci_u32_e64 v5, null, s9, v3, vcc_lo
	global_load_dword v7, v[4:5], off
	s_waitcnt vmcnt(1)
	v_mul_f32_e32 v4, 0xbfb8aa3b, v6
	v_cmp_nlt_f32_e32 vcc_lo, 0x42ce8ed0, v6
	v_fma_f32 v5, 0xbfb8aa3b, v6, -v4
	v_rndne_f32_e32 v8, v4
	v_fmac_f32_e32 v5, 0xb2a5705f, v6
	v_sub_f32_e32 v4, v4, v8
	v_add_f32_e32 v4, v4, v5
	v_cvt_i32_f32_e32 v5, v8
	v_exp_f32_e32 v4, v4
	v_ldexp_f32 v4, v4, v5
	v_cndmask_b32_e32 v4, 0, v4, vcc_lo
	v_cmp_ngt_f32_e32 vcc_lo, 0xc2b17218, v6
	v_cndmask_b32_e32 v4, 0x7f800000, v4, vcc_lo
	v_add_f32_e32 v4, 1.0, v4
	v_div_scale_f32 v5, null, v4, v4, 1.0
	v_div_scale_f32 v10, vcc_lo, 1.0, v4, 1.0
	v_rcp_f32_e32 v8, v5
	v_fma_f32 v9, -v5, v8, 1.0
	v_fmac_f32_e32 v8, v9, v8
	v_mul_f32_e32 v9, v10, v8
	v_fma_f32 v11, -v5, v9, v10
	v_fmac_f32_e32 v9, v11, v8
	v_fma_f32 v5, -v5, v9, v10
	v_div_fmas_f32 v5, v5, v8, v9
	v_add_co_u32 v0, vcc_lo, v0, s3
	v_add_co_ci_u32_e64 v1, null, 0, v1, vcc_lo
	v_div_fixup_f32 v8, v5, v4, 1.0
	v_sub_f32_e32 v4, 1.0, v8
	v_fma_f32 v6, v6, v4, 1.0
	v_add_co_u32 v4, vcc_lo, s12, v2
	v_add_co_ci_u32_e64 v5, null, s13, v3, vcc_lo
	v_mul_f32_e32 v6, v8, v6
	v_cmp_le_u64_e32 vcc_lo, s[14:15], v[0:1]
	v_add_co_u32 v2, s0, v2, s1
	v_add_co_ci_u32_e64 v3, null, 0, v3, s0
	s_waitcnt vmcnt(0)
	v_mul_f32_e32 v6, v7, v6
	s_or_b32 s2, vcc_lo, s2
	global_store_dword v[4:5], v6, off
	s_andn2_b32 exec_lo, exec_lo, s2
	s_cbranch_execnz .LBB4_4
.LBB4_5:
	s_endpgm
	.section	.rodata,"a",@progbits
	.p2align	6, 0x0
	.amdhsa_kernel _Z21silu_backward_kernel3PKfS0_Pfm
		.amdhsa_group_segment_fixed_size 0
		.amdhsa_private_segment_fixed_size 0
		.amdhsa_kernarg_size 288
		.amdhsa_user_sgpr_count 6
		.amdhsa_user_sgpr_private_segment_buffer 1
		.amdhsa_user_sgpr_dispatch_ptr 0
		.amdhsa_user_sgpr_queue_ptr 0
		.amdhsa_user_sgpr_kernarg_segment_ptr 1
		.amdhsa_user_sgpr_dispatch_id 0
		.amdhsa_user_sgpr_flat_scratch_init 0
		.amdhsa_user_sgpr_private_segment_size 0
		.amdhsa_wavefront_size32 1
		.amdhsa_uses_dynamic_stack 0
		.amdhsa_system_sgpr_private_segment_wavefront_offset 0
		.amdhsa_system_sgpr_workgroup_id_x 1
		.amdhsa_system_sgpr_workgroup_id_y 0
		.amdhsa_system_sgpr_workgroup_id_z 0
		.amdhsa_system_sgpr_workgroup_info 0
		.amdhsa_system_vgpr_workitem_id 0
		.amdhsa_next_free_vgpr 36
		.amdhsa_next_free_sgpr 16
		.amdhsa_reserve_vcc 1
		.amdhsa_reserve_flat_scratch 0
		.amdhsa_float_round_mode_32 0
		.amdhsa_float_round_mode_16_64 0
		.amdhsa_float_denorm_mode_32 3
		.amdhsa_float_denorm_mode_16_64 3
		.amdhsa_dx10_clamp 1
		.amdhsa_ieee_mode 1
		.amdhsa_fp16_overflow 0
		.amdhsa_workgroup_processor_mode 1
		.amdhsa_memory_ordered 1
		.amdhsa_forward_progress 1
		.amdhsa_shared_vgpr_count 0
		.amdhsa_exception_fp_ieee_invalid_op 0
		.amdhsa_exception_fp_denorm_src 0
		.amdhsa_exception_fp_ieee_div_zero 0
		.amdhsa_exception_fp_ieee_overflow 0
		.amdhsa_exception_fp_ieee_underflow 0
		.amdhsa_exception_fp_ieee_inexact 0
		.amdhsa_exception_int_div_zero 0
	.end_amdhsa_kernel
	.text
.Lfunc_end4:
	.size	_Z21silu_backward_kernel3PKfS0_Pfm, .Lfunc_end4-_Z21silu_backward_kernel3PKfS0_Pfm
                                        ; -- End function
	.set _Z21silu_backward_kernel3PKfS0_Pfm.num_vgpr, 36
	.set _Z21silu_backward_kernel3PKfS0_Pfm.num_agpr, 0
	.set _Z21silu_backward_kernel3PKfS0_Pfm.numbered_sgpr, 16
	.set _Z21silu_backward_kernel3PKfS0_Pfm.num_named_barrier, 0
	.set _Z21silu_backward_kernel3PKfS0_Pfm.private_seg_size, 0
	.set _Z21silu_backward_kernel3PKfS0_Pfm.uses_vcc, 1
	.set _Z21silu_backward_kernel3PKfS0_Pfm.uses_flat_scratch, 0
	.set _Z21silu_backward_kernel3PKfS0_Pfm.has_dyn_sized_stack, 0
	.set _Z21silu_backward_kernel3PKfS0_Pfm.has_recursion, 0
	.set _Z21silu_backward_kernel3PKfS0_Pfm.has_indirect_call, 0
	.section	.AMDGPU.csdata,"",@progbits
; Kernel info:
; codeLenInByte = 1252
; TotalNumSgprs: 18
; NumVgprs: 36
; ScratchSize: 0
; MemoryBound: 0
; FloatMode: 240
; IeeeMode: 1
; LDSByteSize: 0 bytes/workgroup (compile time only)
; SGPRBlocks: 0
; VGPRBlocks: 4
; NumSGPRsForWavesPerEU: 18
; NumVGPRsForWavesPerEU: 36
; Occupancy: 16
; WaveLimiterHint : 0
; COMPUTE_PGM_RSRC2:SCRATCH_EN: 0
; COMPUTE_PGM_RSRC2:USER_SGPR: 6
; COMPUTE_PGM_RSRC2:TRAP_HANDLER: 0
; COMPUTE_PGM_RSRC2:TGID_X_EN: 1
; COMPUTE_PGM_RSRC2:TGID_Y_EN: 0
; COMPUTE_PGM_RSRC2:TGID_Z_EN: 0
; COMPUTE_PGM_RSRC2:TIDIG_COMP_CNT: 0
	.text
	.p2alignl 6, 3214868480
	.fill 48, 4, 3214868480
	.section	.AMDGPU.gpr_maximums,"",@progbits
	.set amdgpu.max_num_vgpr, 0
	.set amdgpu.max_num_agpr, 0
	.set amdgpu.max_num_sgpr, 0
	.text
	.type	__hip_cuid_1cd00b5c0f70b650,@object ; @__hip_cuid_1cd00b5c0f70b650
	.section	.bss,"aw",@nobits
	.globl	__hip_cuid_1cd00b5c0f70b650
__hip_cuid_1cd00b5c0f70b650:
	.byte	0                               ; 0x0
	.size	__hip_cuid_1cd00b5c0f70b650, 1

	.ident	"AMD clang version 22.0.0git (https://github.com/RadeonOpenCompute/llvm-project roc-7.2.4 26084 f58b06dce1f9c15707c5f808fd002e18c2accf7e)"
	.section	".note.GNU-stack","",@progbits
	.addrsig
	.addrsig_sym __hip_cuid_1cd00b5c0f70b650
	.amdgpu_metadata
---
amdhsa.kernels:
  - .args:
      - .address_space:  global
        .offset:         0
        .size:           8
        .value_kind:     global_buffer
      - .address_space:  global
        .offset:         8
        .size:           8
        .value_kind:     global_buffer
      - .offset:         16
        .size:           8
        .value_kind:     by_value
      - .offset:         24
        .size:           4
        .value_kind:     hidden_block_count_x
      - .offset:         28
        .size:           4
        .value_kind:     hidden_block_count_y
      - .offset:         32
        .size:           4
        .value_kind:     hidden_block_count_z
      - .offset:         36
        .size:           2
        .value_kind:     hidden_group_size_x
      - .offset:         38
        .size:           2
        .value_kind:     hidden_group_size_y
      - .offset:         40
        .size:           2
        .value_kind:     hidden_group_size_z
      - .offset:         42
        .size:           2
        .value_kind:     hidden_remainder_x
      - .offset:         44
        .size:           2
        .value_kind:     hidden_remainder_y
      - .offset:         46
        .size:           2
        .value_kind:     hidden_remainder_z
      - .offset:         64
        .size:           8
        .value_kind:     hidden_global_offset_x
      - .offset:         72
        .size:           8
        .value_kind:     hidden_global_offset_y
      - .offset:         80
        .size:           8
        .value_kind:     hidden_global_offset_z
      - .offset:         88
        .size:           2
        .value_kind:     hidden_grid_dims
    .group_segment_fixed_size: 0
    .kernarg_segment_align: 8
    .kernarg_segment_size: 280
    .language:       OpenCL C
    .language_version:
      - 2
      - 0
    .max_flat_workgroup_size: 1024
    .name:           _Z19silu_forward_kernelPKfPfm
    .private_segment_fixed_size: 0
    .sgpr_count:     9
    .sgpr_spill_count: 0
    .symbol:         _Z19silu_forward_kernelPKfPfm.kd
    .uniform_work_group_size: 1
    .uses_dynamic_stack: false
    .vgpr_count:     9
    .vgpr_spill_count: 0
    .wavefront_size: 32
    .workgroup_processor_mode: 1
  - .args:
      - .address_space:  global
        .offset:         0
        .size:           8
        .value_kind:     global_buffer
      - .address_space:  global
        .offset:         8
        .size:           8
        .value_kind:     global_buffer
      - .offset:         16
        .size:           8
        .value_kind:     by_value
      - .offset:         24
        .size:           4
        .value_kind:     hidden_block_count_x
      - .offset:         28
        .size:           4
        .value_kind:     hidden_block_count_y
      - .offset:         32
        .size:           4
        .value_kind:     hidden_block_count_z
      - .offset:         36
        .size:           2
        .value_kind:     hidden_group_size_x
      - .offset:         38
        .size:           2
        .value_kind:     hidden_group_size_y
      - .offset:         40
        .size:           2
        .value_kind:     hidden_group_size_z
      - .offset:         42
        .size:           2
        .value_kind:     hidden_remainder_x
      - .offset:         44
        .size:           2
        .value_kind:     hidden_remainder_y
      - .offset:         46
        .size:           2
        .value_kind:     hidden_remainder_z
      - .offset:         64
        .size:           8
        .value_kind:     hidden_global_offset_x
      - .offset:         72
        .size:           8
        .value_kind:     hidden_global_offset_y
      - .offset:         80
        .size:           8
        .value_kind:     hidden_global_offset_z
      - .offset:         88
        .size:           2
        .value_kind:     hidden_grid_dims
    .group_segment_fixed_size: 0
    .kernarg_segment_align: 8
    .kernarg_segment_size: 280
    .language:       OpenCL C
    .language_version:
      - 2
      - 0
    .max_flat_workgroup_size: 1024
    .name:           _Z20silu_forward_kernel2PKfPfm
    .private_segment_fixed_size: 0
    .sgpr_count:     16
    .sgpr_spill_count: 0
    .symbol:         _Z20silu_forward_kernel2PKfPfm.kd
    .uniform_work_group_size: 1
    .uses_dynamic_stack: false
    .vgpr_count:     32
    .vgpr_spill_count: 0
    .wavefront_size: 32
    .workgroup_processor_mode: 1
  - .args:
      - .address_space:  global
        .offset:         0
        .size:           8
        .value_kind:     global_buffer
      - .address_space:  global
        .offset:         8
        .size:           8
        .value_kind:     global_buffer
      - .address_space:  global
        .offset:         16
        .size:           8
        .value_kind:     global_buffer
      - .offset:         24
        .size:           8
        .value_kind:     by_value
      - .offset:         32
        .size:           4
        .value_kind:     hidden_block_count_x
      - .offset:         36
        .size:           4
        .value_kind:     hidden_block_count_y
      - .offset:         40
        .size:           4
        .value_kind:     hidden_block_count_z
      - .offset:         44
        .size:           2
        .value_kind:     hidden_group_size_x
      - .offset:         46
        .size:           2
        .value_kind:     hidden_group_size_y
      - .offset:         48
        .size:           2
        .value_kind:     hidden_group_size_z
      - .offset:         50
        .size:           2
        .value_kind:     hidden_remainder_x
      - .offset:         52
        .size:           2
        .value_kind:     hidden_remainder_y
      - .offset:         54
        .size:           2
        .value_kind:     hidden_remainder_z
      - .offset:         72
        .size:           8
        .value_kind:     hidden_global_offset_x
      - .offset:         80
        .size:           8
        .value_kind:     hidden_global_offset_y
      - .offset:         88
        .size:           8
        .value_kind:     hidden_global_offset_z
      - .offset:         96
        .size:           2
        .value_kind:     hidden_grid_dims
    .group_segment_fixed_size: 0
    .kernarg_segment_align: 8
    .kernarg_segment_size: 288
    .language:       OpenCL C
    .language_version:
      - 2
      - 0
    .max_flat_workgroup_size: 1024
    .name:           _Z20silu_backward_kernelPKfS0_Pfm
    .private_segment_fixed_size: 0
    .sgpr_count:     18
    .sgpr_spill_count: 0
    .symbol:         _Z20silu_backward_kernelPKfS0_Pfm.kd
    .uniform_work_group_size: 1
    .uses_dynamic_stack: false
    .vgpr_count:     10
    .vgpr_spill_count: 0
    .wavefront_size: 32
    .workgroup_processor_mode: 1
  - .args:
      - .address_space:  global
        .offset:         0
        .size:           8
        .value_kind:     global_buffer
      - .address_space:  global
        .offset:         8
        .size:           8
        .value_kind:     global_buffer
      - .address_space:  global
        .offset:         16
        .size:           8
        .value_kind:     global_buffer
      - .offset:         24
        .size:           8
        .value_kind:     by_value
      - .offset:         32
        .size:           4
        .value_kind:     hidden_block_count_x
      - .offset:         36
        .size:           4
        .value_kind:     hidden_block_count_y
      - .offset:         40
        .size:           4
        .value_kind:     hidden_block_count_z
      - .offset:         44
        .size:           2
        .value_kind:     hidden_group_size_x
      - .offset:         46
        .size:           2
        .value_kind:     hidden_group_size_y
      - .offset:         48
        .size:           2
        .value_kind:     hidden_group_size_z
      - .offset:         50
        .size:           2
        .value_kind:     hidden_remainder_x
      - .offset:         52
        .size:           2
        .value_kind:     hidden_remainder_y
      - .offset:         54
        .size:           2
        .value_kind:     hidden_remainder_z
      - .offset:         72
        .size:           8
        .value_kind:     hidden_global_offset_x
      - .offset:         80
        .size:           8
        .value_kind:     hidden_global_offset_y
      - .offset:         88
        .size:           8
        .value_kind:     hidden_global_offset_z
      - .offset:         96
        .size:           2
        .value_kind:     hidden_grid_dims
    .group_segment_fixed_size: 0
    .kernarg_segment_align: 8
    .kernarg_segment_size: 288
    .language:       OpenCL C
    .language_version:
      - 2
      - 0
    .max_flat_workgroup_size: 1024
    .name:           _Z21silu_backward_kernel2PKfS0_Pfm
    .private_segment_fixed_size: 0
    .sgpr_count:     18
    .sgpr_spill_count: 0
    .symbol:         _Z21silu_backward_kernel2PKfS0_Pfm.kd
    .uniform_work_group_size: 1
    .uses_dynamic_stack: false
    .vgpr_count:     10
    .vgpr_spill_count: 0
    .wavefront_size: 32
    .workgroup_processor_mode: 1
  - .args:
      - .address_space:  global
        .offset:         0
        .size:           8
        .value_kind:     global_buffer
      - .address_space:  global
        .offset:         8
        .size:           8
        .value_kind:     global_buffer
      - .address_space:  global
        .offset:         16
        .size:           8
        .value_kind:     global_buffer
      - .offset:         24
        .size:           8
        .value_kind:     by_value
      - .offset:         32
        .size:           4
        .value_kind:     hidden_block_count_x
      - .offset:         36
        .size:           4
        .value_kind:     hidden_block_count_y
      - .offset:         40
        .size:           4
        .value_kind:     hidden_block_count_z
      - .offset:         44
        .size:           2
        .value_kind:     hidden_group_size_x
      - .offset:         46
        .size:           2
        .value_kind:     hidden_group_size_y
      - .offset:         48
        .size:           2
        .value_kind:     hidden_group_size_z
      - .offset:         50
        .size:           2
        .value_kind:     hidden_remainder_x
      - .offset:         52
        .size:           2
        .value_kind:     hidden_remainder_y
      - .offset:         54
        .size:           2
        .value_kind:     hidden_remainder_z
      - .offset:         72
        .size:           8
        .value_kind:     hidden_global_offset_x
      - .offset:         80
        .size:           8
        .value_kind:     hidden_global_offset_y
      - .offset:         88
        .size:           8
        .value_kind:     hidden_global_offset_z
      - .offset:         96
        .size:           2
        .value_kind:     hidden_grid_dims
    .group_segment_fixed_size: 0
    .kernarg_segment_align: 8
    .kernarg_segment_size: 288
    .language:       OpenCL C
    .language_version:
      - 2
      - 0
    .max_flat_workgroup_size: 1024
    .name:           _Z21silu_backward_kernel3PKfS0_Pfm
    .private_segment_fixed_size: 0
    .sgpr_count:     18
    .sgpr_spill_count: 0
    .symbol:         _Z21silu_backward_kernel3PKfS0_Pfm.kd
    .uniform_work_group_size: 1
    .uses_dynamic_stack: false
    .vgpr_count:     36
    .vgpr_spill_count: 0
    .wavefront_size: 32
    .workgroup_processor_mode: 1
amdhsa.target:   amdgcn-amd-amdhsa--gfx1030
amdhsa.version:
  - 1
  - 2
...

	.end_amdgpu_metadata
